;; amdgpu-corpus repo=ROCm/rocFFT kind=compiled arch=gfx950 opt=O3
	.text
	.amdgcn_target "amdgcn-amd-amdhsa--gfx950"
	.amdhsa_code_object_version 6
	.protected	bluestein_single_fwd_len360_dim1_sp_op_CI_CI ; -- Begin function bluestein_single_fwd_len360_dim1_sp_op_CI_CI
	.globl	bluestein_single_fwd_len360_dim1_sp_op_CI_CI
	.p2align	8
	.type	bluestein_single_fwd_len360_dim1_sp_op_CI_CI,@function
bluestein_single_fwd_len360_dim1_sp_op_CI_CI: ; @bluestein_single_fwd_len360_dim1_sp_op_CI_CI
; %bb.0:
	s_load_dwordx4 s[8:11], s[0:1], 0x28
	v_mul_u32_u24_e32 v1, 0x445, v0
	v_lshrrev_b32_e32 v1, 16, v1
	v_lshl_add_u32 v36, s2, 2, v1
	v_mov_b32_e32 v37, 0
	s_waitcnt lgkmcnt(0)
	v_cmp_gt_u64_e32 vcc, s[8:9], v[36:37]
	s_and_saveexec_b64 s[2:3], vcc
	s_cbranch_execz .LBB0_15
; %bb.1:
	s_load_dwordx2 s[8:9], s[0:1], 0x0
	s_load_dwordx2 s[12:13], s[0:1], 0x38
	v_mul_lo_u16_e32 v2, 60, v1
	v_sub_u16_e32 v37, v0, v2
	v_and_b32_e32 v0, 3, v1
	v_mul_u32_u24_e32 v46, 0x168, v0
	v_cmp_gt_u16_e32 vcc, 36, v37
	v_lshlrev_b32_e32 v62, 3, v37
	v_lshlrev_b32_e32 v63, 3, v46
	s_and_saveexec_b64 s[2:3], vcc
	s_cbranch_execz .LBB0_3
; %bb.2:
	s_load_dwordx2 s[4:5], s[0:1], 0x18
	v_mov_b32_e32 v0, s10
	v_mov_b32_e32 v1, s11
	;; [unrolled: 1-line block ×3, first 2 shown]
	v_lshl_add_u32 v44, v37, 3, v63
	s_waitcnt lgkmcnt(0)
	s_load_dwordx4 s[4:7], s[4:5], 0x0
	v_add_u32_e32 v45, v63, v62
	v_add_u32_e32 v47, 0x400, v45
	s_waitcnt lgkmcnt(0)
	v_mad_u64_u32 v[2:3], s[10:11], s6, v36, 0
	v_mad_u64_u32 v[4:5], s[10:11], s4, v37, 0
	v_mov_b32_e32 v6, v3
	v_mov_b32_e32 v8, v5
	v_mad_u64_u32 v[6:7], s[6:7], s7, v36, v[6:7]
	v_mov_b32_e32 v3, v6
	v_mad_u64_u32 v[6:7], s[6:7], s5, v37, v[8:9]
	v_mov_b32_e32 v5, v6
	v_lshl_add_u64 v[0:1], v[2:3], 3, v[0:1]
	v_lshl_add_u64 v[0:1], v[4:5], 3, v[0:1]
	global_load_dwordx2 v[2:3], v[0:1], off
	global_load_dwordx2 v[4:5], v62, s[8:9]
	v_mad_u64_u32 v[0:1], s[6:7], s4, v40, v[0:1]
	s_mul_i32 s10, s5, 0x120
	v_add_u32_e32 v1, s10, v1
	v_mad_u64_u32 v[6:7], s[6:7], s4, v40, v[0:1]
	v_add_u32_e32 v7, s10, v7
	global_load_dwordx2 v[8:9], v[0:1], off
	global_load_dwordx2 v[10:11], v[6:7], off
	global_load_dwordx2 v[12:13], v62, s[8:9] offset:288
	v_mad_u64_u32 v[0:1], s[6:7], s4, v40, v[6:7]
	v_add_u32_e32 v1, s10, v1
	v_mad_u64_u32 v[16:17], s[6:7], s4, v40, v[0:1]
	v_add_u32_e32 v17, s10, v17
	global_load_dwordx2 v[6:7], v62, s[8:9] offset:576
	global_load_dwordx2 v[14:15], v62, s[8:9] offset:864
	global_load_dwordx2 v[18:19], v[0:1], off
	global_load_dwordx2 v[20:21], v[16:17], off
	v_mad_u64_u32 v[0:1], s[6:7], s4, v40, v[16:17]
	v_add_u32_e32 v1, s10, v1
	global_load_dwordx2 v[22:23], v[0:1], off
	v_mad_u64_u32 v[0:1], s[6:7], s4, v40, v[0:1]
	v_add_u32_e32 v1, s10, v1
	global_load_dwordx2 v[16:17], v62, s[8:9] offset:1152
	global_load_dwordx2 v[24:25], v62, s[8:9] offset:1440
	global_load_dwordx2 v[26:27], v[0:1], off
	global_load_dwordx2 v[28:29], v62, s[8:9] offset:1728
	v_mad_u64_u32 v[0:1], s[6:7], s4, v40, v[0:1]
	v_add_u32_e32 v1, s10, v1
	global_load_dwordx2 v[30:31], v[0:1], off
	global_load_dwordx2 v[32:33], v62, s[8:9] offset:2016
	v_mad_u64_u32 v[0:1], s[6:7], s4, v40, v[0:1]
	v_add_u32_e32 v1, s10, v1
	global_load_dwordx2 v[34:35], v[0:1], off
	global_load_dwordx2 v[38:39], v62, s[8:9] offset:2304
	v_mad_u64_u32 v[0:1], s[4:5], s4, v40, v[0:1]
	v_add_u32_e32 v1, s10, v1
	global_load_dwordx2 v[40:41], v62, s[8:9] offset:2592
	global_load_dwordx2 v[42:43], v[0:1], off
	s_waitcnt vmcnt(18)
	v_mul_f32_e32 v0, v3, v5
	v_mul_f32_e32 v1, v2, v5
	v_fmac_f32_e32 v0, v2, v4
	v_fma_f32 v1, v3, v4, -v1
	ds_write_b64 v44, v[0:1]
	s_waitcnt vmcnt(15)
	v_mul_f32_e32 v0, v9, v13
	v_mul_f32_e32 v1, v8, v13
	v_fmac_f32_e32 v0, v8, v12
	v_fma_f32 v1, v9, v12, -v1
	s_waitcnt vmcnt(14)
	v_mul_f32_e32 v2, v11, v7
	v_mul_f32_e32 v3, v10, v7
	v_fmac_f32_e32 v2, v10, v6
	v_fma_f32 v3, v11, v6, -v3
	ds_write2_b64 v45, v[0:1], v[2:3] offset0:36 offset1:72
	s_waitcnt vmcnt(12)
	v_mul_f32_e32 v0, v19, v15
	v_mul_f32_e32 v1, v18, v15
	v_fmac_f32_e32 v0, v18, v14
	v_fma_f32 v1, v19, v14, -v1
	s_waitcnt vmcnt(9)
	v_mul_f32_e32 v2, v21, v17
	v_mul_f32_e32 v3, v20, v17
	v_fmac_f32_e32 v2, v20, v16
	v_fma_f32 v3, v21, v16, -v3
	ds_write2_b64 v45, v[0:1], v[2:3] offset0:108 offset1:144
	s_waitcnt vmcnt(8)
	v_mul_f32_e32 v0, v23, v25
	v_mul_f32_e32 v1, v22, v25
	s_waitcnt vmcnt(6)
	v_mul_f32_e32 v2, v27, v29
	v_mul_f32_e32 v3, v26, v29
	v_fmac_f32_e32 v0, v22, v24
	v_fma_f32 v1, v23, v24, -v1
	v_fmac_f32_e32 v2, v26, v28
	v_fma_f32 v3, v27, v28, -v3
	ds_write2_b64 v45, v[0:1], v[2:3] offset0:180 offset1:216
	s_waitcnt vmcnt(4)
	v_mul_f32_e32 v0, v31, v33
	v_mul_f32_e32 v1, v30, v33
	s_waitcnt vmcnt(2)
	v_mul_f32_e32 v2, v35, v39
	v_mul_f32_e32 v3, v34, v39
	v_fmac_f32_e32 v0, v30, v32
	v_fma_f32 v1, v31, v32, -v1
	v_fmac_f32_e32 v2, v34, v38
	v_fma_f32 v3, v35, v38, -v3
	ds_write2_b64 v47, v[0:1], v[2:3] offset0:124 offset1:160
	s_waitcnt vmcnt(0)
	v_mul_f32_e32 v0, v43, v41
	v_mul_f32_e32 v1, v42, v41
	v_fmac_f32_e32 v0, v42, v40
	v_fma_f32 v1, v43, v40, -v1
	ds_write_b64 v45, v[0:1] offset:2592
.LBB0_3:
	s_or_b64 exec, exec, s[2:3]
	s_load_dwordx2 s[2:3], s[0:1], 0x20
	s_load_dwordx2 s[4:5], s[0:1], 0x8
	s_waitcnt lgkmcnt(0)
	s_barrier
	s_waitcnt lgkmcnt(0)
                                        ; implicit-def: $vgpr0
                                        ; implicit-def: $vgpr4
                                        ; implicit-def: $vgpr24
                                        ; implicit-def: $vgpr20
                                        ; implicit-def: $vgpr16
                                        ; implicit-def: $vgpr28
                                        ; implicit-def: $vgpr6
                                        ; implicit-def: $vgpr2
                                        ; implicit-def: $vgpr22
                                        ; implicit-def: $vgpr26
	s_and_saveexec_b64 s[0:1], vcc
	s_cbranch_execz .LBB0_5
; %bb.4:
	v_lshl_add_u32 v8, v46, 3, v62
	ds_read2_b64 v[16:19], v8 offset1:36
	ds_read2_b64 v[4:7], v8 offset0:144 offset1:180
	ds_read2_b64 v[0:3], v8 offset0:72 offset1:108
	;; [unrolled: 1-line block ×3, first 2 shown]
	v_add_u32_e32 v8, 0x800, v8
	ds_read2_b64 v[24:27], v8 offset0:32 offset1:68
	s_waitcnt lgkmcnt(3)
	v_mov_b32_e32 v28, v7
	v_mov_b32_e32 v29, v6
	s_waitcnt lgkmcnt(2)
	v_mov_b32_e32 v6, v3
	v_mov_b32_e32 v7, v2
	;; [unrolled: 3-line block ×4, first 2 shown]
	v_mov_b32_e32 v26, v19
	v_mov_b32_e32 v27, v18
.LBB0_5:
	s_or_b64 exec, exec, s[0:1]
	v_pk_add_f32 v[8:9], v[4:5], v[20:21]
	s_mov_b32 s0, 0x3f737871
	v_pk_add_f32 v[10:11], v[0:1], v[24:25] neg_lo:[0,1] neg_hi:[0,1]
	v_pk_fma_f32 v[8:9], v[8:9], 0.5, v[16:17] op_sel_hi:[1,0,1] neg_lo:[1,0,0] neg_hi:[1,0,0]
	s_mov_b32 s1, 0xbf737871
	v_pk_add_f32 v[12:13], v[4:5], v[20:21] neg_lo:[0,1] neg_hi:[0,1]
	v_pk_fma_f32 v[30:31], v[10:11], s[0:1], v[8:9] op_sel:[1,0,0] op_sel_hi:[0,0,1]
	v_pk_fma_f32 v[8:9], v[10:11], s[0:1], v[8:9] op_sel:[1,0,0] op_sel_hi:[0,0,1] neg_lo:[1,0,0] neg_hi:[1,0,0]
	s_mov_b32 s6, 0x3f167918
	v_pk_add_f32 v[14:15], v[0:1], v[4:5] neg_lo:[0,1] neg_hi:[0,1]
	v_pk_add_f32 v[18:19], v[24:25], v[20:21] neg_lo:[0,1] neg_hi:[0,1]
	v_pk_fma_f32 v[8:9], v[12:13], s[6:7], v[8:9] op_sel:[1,0,0] op_sel_hi:[0,0,1] neg_lo:[1,0,0] neg_hi:[1,0,0]
	v_pk_fma_f32 v[30:31], v[12:13], s[6:7], v[30:31] op_sel:[1,0,0] op_sel_hi:[0,0,1]
	v_pk_add_f32 v[32:33], v[0:1], v[24:25]
	v_pk_add_f32 v[14:15], v[14:15], v[18:19]
	v_mov_b32_e32 v18, v30
	v_mov_b32_e32 v19, v9
	;; [unrolled: 1-line block ×3, first 2 shown]
	s_mov_b32 s10, 0x3e9e377a
	v_pk_fma_f32 v[30:31], v[14:15], s[10:11], v[18:19] op_sel_hi:[1,0,1]
	v_pk_fma_f32 v[18:19], v[14:15], s[10:11], v[8:9] op_sel_hi:[1,0,1]
	v_pk_fma_f32 v[8:9], v[32:33], 0.5, v[16:17] op_sel_hi:[1,0,1] neg_lo:[1,0,0] neg_hi:[1,0,0]
	v_pk_add_f32 v[34:35], v[4:5], v[0:1] neg_lo:[0,1] neg_hi:[0,1]
	v_pk_fma_f32 v[14:15], v[12:13], s[0:1], v[8:9] op_sel:[1,0,0] op_sel_hi:[0,0,1] neg_lo:[1,0,0] neg_hi:[1,0,0]
	v_pk_fma_f32 v[8:9], v[12:13], s[0:1], v[8:9] op_sel:[1,0,0] op_sel_hi:[0,0,1]
	v_pk_add_f32 v[38:39], v[20:21], v[24:25] neg_lo:[0,1] neg_hi:[0,1]
	v_pk_fma_f32 v[8:9], v[10:11], s[6:7], v[8:9] op_sel:[1,0,0] op_sel_hi:[0,0,1] neg_lo:[1,0,0] neg_hi:[1,0,0]
	v_pk_fma_f32 v[10:11], v[10:11], s[6:7], v[14:15] op_sel:[1,0,0] op_sel_hi:[0,0,1]
	v_pk_add_f32 v[12:13], v[28:29], v[2:3]
	v_pk_add_f32 v[34:35], v[34:35], v[38:39]
	v_mov_b32_e32 v32, v10
	v_mov_b32_e32 v33, v9
	;; [unrolled: 1-line block ×3, first 2 shown]
	v_pk_add_f32 v[40:41], v[6:7], v[22:23] neg_lo:[0,1] neg_hi:[0,1]
	v_pk_fma_f32 v[32:33], v[34:35], s[10:11], v[32:33] op_sel_hi:[1,0,1]
	v_pk_fma_f32 v[34:35], v[34:35], s[10:11], v[8:9] op_sel_hi:[1,0,1]
	v_pk_fma_f32 v[8:9], v[12:13], 0.5, v[26:27] op_sel_hi:[1,0,1] neg_lo:[1,0,0] neg_hi:[1,0,0]
	v_pk_add_f32 v[42:43], v[28:29], v[2:3] neg_lo:[0,1] neg_hi:[0,1]
	v_pk_add_f32 v[44:45], v[6:7], v[28:29] neg_lo:[0,1] neg_hi:[0,1]
	;; [unrolled: 1-line block ×3, first 2 shown]
	v_pk_fma_f32 v[10:11], v[40:41], s[0:1], v[8:9] op_sel:[1,0,0] op_sel_hi:[0,0,1]
	v_pk_fma_f32 v[8:9], v[40:41], s[0:1], v[8:9] op_sel:[1,0,0] op_sel_hi:[0,0,1] neg_lo:[1,0,0] neg_hi:[1,0,0]
	v_pk_add_f32 v[12:13], v[44:45], v[48:49]
	v_pk_fma_f32 v[10:11], v[42:43], s[6:7], v[10:11] op_sel:[1,0,0] op_sel_hi:[0,0,1]
	v_pk_fma_f32 v[8:9], v[42:43], s[6:7], v[8:9] op_sel:[1,0,0] op_sel_hi:[0,0,1] neg_lo:[1,0,0] neg_hi:[1,0,0]
	v_pk_add_f32 v[14:15], v[6:7], v[22:23]
	v_pk_fma_f32 v[38:39], v[12:13], s[10:11], v[10:11] op_sel_hi:[1,0,1]
	v_mov_b32_e32 v11, v9
	v_pk_fma_f32 v[44:45], v[12:13], s[10:11], v[8:9] op_sel_hi:[1,0,1]
	v_pk_fma_f32 v[8:9], v[12:13], s[10:11], v[10:11] op_sel_hi:[1,0,1]
	v_pk_fma_f32 v[10:11], v[14:15], 0.5, v[26:27] op_sel_hi:[1,0,1] neg_lo:[1,0,0] neg_hi:[1,0,0]
	v_pk_add_f32 v[50:51], v[28:29], v[6:7] neg_lo:[0,1] neg_hi:[0,1]
	v_pk_fma_f32 v[12:13], v[42:43], s[0:1], v[10:11] op_sel:[1,0,0] op_sel_hi:[0,0,1] neg_lo:[1,0,0] neg_hi:[1,0,0]
	v_pk_fma_f32 v[10:11], v[42:43], s[0:1], v[10:11] op_sel:[1,0,0] op_sel_hi:[0,0,1]
	v_pk_add_f32 v[52:53], v[2:3], v[22:23] neg_lo:[0,1] neg_hi:[0,1]
	v_pk_fma_f32 v[12:13], v[40:41], s[6:7], v[12:13] op_sel:[1,0,0] op_sel_hi:[0,0,1]
	v_pk_fma_f32 v[10:11], v[40:41], s[6:7], v[10:11] op_sel:[1,0,0] op_sel_hi:[0,0,1] neg_lo:[1,0,0] neg_hi:[1,0,0]
	v_mov_b32_e32 v15, v13
	v_pk_add_f32 v[40:41], v[50:51], v[52:53]
	v_mov_b32_e32 v13, v11
	s_mov_b32 s14, 0x3f4f1bbd
	s_mov_b32 s15, s6
	v_mov_b32_e32 v14, v10
	v_pk_fma_f32 v[10:11], v[40:41], s[10:11], v[12:13] op_sel_hi:[1,0,1]
	v_pk_mul_f32 v[12:13], v[38:39], s[14:15] op_sel:[1,0]
	s_mov_b32 s7, s14
	v_pk_fma_f32 v[14:15], v[40:41], s[10:11], v[14:15] op_sel_hi:[1,0,1]
	v_pk_fma_f32 v[42:43], v[44:45], s[6:7], v[12:13]
	v_pk_fma_f32 v[12:13], v[44:45], s[6:7], v[12:13] op_sel_hi:[0,1,1] neg_lo:[0,0,1] neg_hi:[0,0,1]
	v_mov_b32_e32 v43, v13
	v_pk_mul_f32 v[12:13], v[14:15], s[0:1] op_sel_hi:[1,0]
	s_mov_b32 s7, 0xbf167918
	v_pk_fma_f32 v[38:39], v[14:15], s[10:11], v[12:13] op_sel:[0,0,1] op_sel_hi:[1,0,0]
	v_pk_fma_f32 v[12:13], v[14:15], s[10:11], v[12:13] op_sel:[0,0,1] op_sel_hi:[1,0,0] neg_lo:[0,0,1] neg_hi:[0,0,1]
	v_mov_b32_e32 v38, v39
	v_mov_b32_e32 v39, v12
	v_pk_mul_f32 v[12:13], v[10:11], s[10:11] op_sel_hi:[1,0]
	v_mul_lo_u16_e32 v67, 10, v37
	v_pk_fma_f32 v[44:45], v[10:11], s[0:1], v[12:13] op_sel:[0,0,1] op_sel_hi:[1,1,0] neg_lo:[0,0,1] neg_hi:[0,0,1]
	v_pk_mul_f32 v[10:11], v[8:9], s[14:15] op_sel_hi:[1,0]
	v_pk_add_f32 v[12:13], v[34:35], v[44:45] neg_lo:[0,1] neg_hi:[0,1]
	v_pk_fma_f32 v[40:41], v[8:9], s[6:7], v[10:11] op_sel:[0,0,1] op_sel_hi:[1,1,0] neg_lo:[0,0,1] neg_hi:[0,0,1]
	v_pk_add_f32 v[8:9], v[30:31], v[42:43] neg_lo:[0,1] neg_hi:[0,1]
	v_pk_add_f32 v[10:11], v[32:33], v[38:39] neg_lo:[0,1] neg_hi:[0,1]
	;; [unrolled: 1-line block ×3, first 2 shown]
	s_barrier
	s_and_saveexec_b64 s[0:1], vcc
	s_cbranch_execz .LBB0_7
; %bb.6:
	v_pk_add_f32 v[0:1], v[16:17], v[0:1]
	v_add_lshl_u32 v47, v46, v67, 3
	v_pk_add_f32 v[0:1], v[0:1], v[4:5]
	s_nop 0
	v_pk_add_f32 v[0:1], v[0:1], v[20:21]
	s_nop 0
	v_pk_add_f32 v[4:5], v[0:1], v[24:25]
	v_pk_add_f32 v[0:1], v[26:27], v[6:7]
	s_nop 0
	v_pk_add_f32 v[0:1], v[0:1], v[28:29]
	s_nop 0
	v_pk_add_f32 v[0:1], v[0:1], v[2:3]
	v_pk_add_f32 v[2:3], v[30:31], v[42:43]
	;; [unrolled: 1-line block ×3, first 2 shown]
	s_nop 0
	v_pk_add_f32 v[0:1], v[4:5], v[6:7] op_sel:[0,1] op_sel_hi:[1,0]
	ds_write_b128 v47, v[0:3]
	v_pk_add_f32 v[0:1], v[32:33], v[38:39]
	v_pk_add_f32 v[2:3], v[34:35], v[44:45]
	ds_write_b128 v47, v[0:3] offset:16
	v_pk_add_f32 v[0:1], v[18:19], v[40:41]
	v_pk_add_f32 v[2:3], v[4:5], v[6:7] op_sel:[0,1] op_sel_hi:[1,0] neg_lo:[0,1] neg_hi:[0,1]
	ds_write_b128 v47, v[0:3] offset:32
	ds_write_b128 v47, v[8:11] offset:48
	;; [unrolled: 1-line block ×3, first 2 shown]
.LBB0_7:
	s_or_b64 exec, exec, s[0:1]
	s_movk_i32 s6, 0xcd
	v_mul_lo_u16_sdwa v0, v37, s6 dst_sel:DWORD dst_unused:UNUSED_PAD src0_sel:BYTE_0 src1_sel:DWORD
	v_lshrrev_b16_e32 v30, 11, v0
	v_mul_lo_u16_e32 v0, 10, v30
	v_sub_u16_e32 v0, v37, v0
	v_and_b32_e32 v31, 0xff, v0
	v_mad_u64_u32 v[16:17], s[6:7], v31, 40, s[4:5]
	s_load_dwordx4 s[0:3], s[2:3], 0x0
	s_waitcnt lgkmcnt(0)
	s_barrier
	global_load_dwordx4 v[4:7], v[16:17], off
	global_load_dwordx4 v[0:3], v[16:17], off offset:16
	global_load_dwordx2 v[38:39], v[16:17], off offset:32
	v_add_lshl_u32 v65, v46, v37, 3
	v_add_u32_e32 v47, 0x400, v65
	ds_read2_b64 v[16:19], v65 offset1:60
	ds_read2_b64 v[20:23], v65 offset0:120 offset1:180
	ds_read2_b64 v[24:27], v47 offset0:112 offset1:172
	v_mul_u32_u24_e32 v30, 60, v30
	v_add_u32_e32 v30, v30, v31
	v_add_lshl_u32 v66, v46, v30, 3
	s_mov_b32 s6, 0x3f5db3d7
	s_mov_b32 s7, 0xbf5db3d7
	v_mad_u64_u32 v[28:29], s[4:5], v37, 40, s[4:5]
	s_waitcnt lgkmcnt(0)
	s_barrier
	s_mov_b32 s4, 0.5
	s_mov_b32 s5, s6
	s_mov_b32 s10, s6
	s_mov_b32 s11, s4
	v_lshl_add_u32 v64, v37, 3, v63
	v_add_u32_e32 v54, 0x400, v64
	s_waitcnt vmcnt(2)
	v_pk_mul_f32 v[30:31], v[18:19], v[4:5] op_sel:[0,1]
	v_mov_b32_e32 v32, v7
	s_waitcnt vmcnt(1)
	v_pk_mul_f32 v[34:35], v[22:23], v[0:1] op_sel:[0,1]
	v_mov_b32_e32 v40, v3
	s_waitcnt vmcnt(0)
	v_pk_mul_f32 v[42:43], v[26:27], v[38:39] op_sel:[0,1]
	v_pk_fma_f32 v[44:45], v[18:19], v[4:5], v[30:31] op_sel:[0,0,1] op_sel_hi:[1,1,0] neg_lo:[0,0,1] neg_hi:[0,0,1]
	v_pk_fma_f32 v[18:19], v[18:19], v[4:5], v[30:31] op_sel:[0,0,1] op_sel_hi:[1,0,0]
	v_pk_mul_f32 v[30:31], v[20:21], v[32:33] op_sel_hi:[1,0]
	v_pk_fma_f32 v[32:33], v[22:23], v[0:1], v[34:35] op_sel:[0,0,1] op_sel_hi:[1,1,0] neg_lo:[0,0,1] neg_hi:[0,0,1]
	v_pk_fma_f32 v[22:23], v[22:23], v[0:1], v[34:35] op_sel:[0,0,1] op_sel_hi:[1,0,0]
	v_pk_mul_f32 v[34:35], v[24:25], v[40:41] op_sel_hi:[1,0]
	v_pk_fma_f32 v[40:41], v[26:27], v[38:39], v[42:43] op_sel:[0,0,1] op_sel_hi:[1,1,0] neg_lo:[0,0,1] neg_hi:[0,0,1]
	v_pk_fma_f32 v[26:27], v[26:27], v[38:39], v[42:43] op_sel:[0,0,1] op_sel_hi:[1,0,0]
	v_mov_b32_e32 v45, v19
	v_pk_fma_f32 v[18:19], v[20:21], v[6:7], v[30:31] op_sel:[0,0,1] op_sel_hi:[1,1,0] neg_lo:[0,0,1] neg_hi:[0,0,1]
	v_pk_fma_f32 v[20:21], v[20:21], v[6:7], v[30:31] op_sel:[0,0,1] op_sel_hi:[1,0,0]
	v_mov_b32_e32 v33, v23
	;; [unrolled: 3-line block ×3, first 2 shown]
	v_mov_b32_e32 v19, v21
	v_mov_b32_e32 v23, v25
	v_pk_add_f32 v[24:25], v[32:33], v[40:41]
	v_pk_add_f32 v[20:21], v[44:45], v[32:33]
	v_pk_add_f32 v[26:27], v[32:33], v[40:41] neg_lo:[0,1] neg_hi:[0,1]
	v_pk_add_f32 v[30:31], v[16:17], v[18:19]
	v_pk_add_f32 v[32:33], v[18:19], v[22:23]
	v_pk_add_f32 v[18:19], v[18:19], v[22:23] neg_lo:[0,1] neg_hi:[0,1]
	v_pk_fma_f32 v[24:25], v[24:25], 0.5, v[44:45] op_sel_hi:[1,0,1] neg_lo:[1,0,0] neg_hi:[1,0,0]
	v_pk_add_f32 v[22:23], v[30:31], v[22:23]
	v_pk_fma_f32 v[16:17], v[32:33], 0.5, v[16:17] op_sel_hi:[1,0,1] neg_lo:[1,0,0] neg_hi:[1,0,0]
	v_pk_mul_f32 v[18:19], v[18:19], s[6:7] op_sel_hi:[1,0]
	v_pk_fma_f32 v[30:31], v[26:27], s[6:7], v[24:25] op_sel:[0,0,1] op_sel_hi:[1,0,0]
	v_pk_fma_f32 v[24:25], v[26:27], s[6:7], v[24:25] op_sel:[0,0,1] op_sel_hi:[1,0,0] neg_lo:[1,0,0] neg_hi:[1,0,0]
	v_pk_add_f32 v[32:33], v[18:19], v[16:17] op_sel:[1,0] op_sel_hi:[0,1]
	v_pk_add_f32 v[16:17], v[16:17], v[18:19] op_sel:[0,1] op_sel_hi:[1,0] neg_lo:[0,1] neg_hi:[0,1]
	v_mov_b32_e32 v18, v30
	v_mov_b32_e32 v19, v25
	v_mul_f32_e32 v35, 0xbf5db3d7, v31
	v_pk_add_f32 v[20:21], v[20:21], v[40:41]
	v_mul_f32_e32 v34, 0x3f5db3d7, v24
	v_fmac_f32_e32 v35, 0.5, v24
	v_pk_mul_f32 v[24:25], v[18:19], 0.5 op_sel_hi:[1,0]
	v_pk_add_f32 v[26:27], v[22:23], v[20:21]
	v_pk_add_f32 v[20:21], v[22:23], v[20:21] neg_lo:[0,1] neg_hi:[0,1]
	v_mov_b32_e32 v22, v16
	v_mov_b32_e32 v23, v33
	v_fmac_f32_e32 v34, 0.5, v31
	v_pk_fma_f32 v[18:19], v[18:19], s[6:7], v[24:25] op_sel:[0,0,1] op_sel_hi:[1,1,0] neg_lo:[0,0,1] neg_hi:[0,0,1]
	v_add_f32_e32 v30, v32, v34
	v_add_f32_e32 v31, v17, v35
	v_sub_f32_e32 v16, v32, v34
	v_sub_f32_e32 v17, v17, v35
	v_pk_add_f32 v[24:25], v[22:23], v[18:19]
	v_pk_add_f32 v[18:19], v[22:23], v[18:19] neg_lo:[0,1] neg_hi:[0,1]
	ds_write2_b64 v66, v[26:27], v[30:31] offset1:10
	ds_write2_b64 v66, v[24:25], v[20:21] offset0:20 offset1:30
	ds_write2_b64 v66, v[16:17], v[18:19] offset0:40 offset1:50
	s_waitcnt lgkmcnt(0)
	s_barrier
	global_load_dwordx4 v[20:23], v[28:29], off offset:400
	global_load_dwordx4 v[16:19], v[28:29], off offset:416
	global_load_dwordx2 v[40:41], v[28:29], off offset:432
	ds_read2_b64 v[24:27], v65 offset1:60
	ds_read2_b64 v[28:31], v65 offset0:120 offset1:180
	ds_read2_b64 v[32:35], v47 offset0:112 offset1:172
	s_waitcnt vmcnt(2) lgkmcnt(2)
	v_pk_mul_f32 v[42:43], v[26:27], v[20:21] op_sel:[0,1]
	v_mov_b32_e32 v44, v23
	s_waitcnt vmcnt(1) lgkmcnt(1)
	v_pk_mul_f32 v[46:47], v[30:31], v[16:17] op_sel:[0,1]
	v_mov_b32_e32 v48, v19
	s_waitcnt vmcnt(0) lgkmcnt(0)
	v_pk_mul_f32 v[50:51], v[34:35], v[40:41] op_sel:[0,1]
	v_pk_fma_f32 v[52:53], v[26:27], v[20:21], v[42:43] op_sel:[0,0,1] op_sel_hi:[1,1,0] neg_lo:[0,0,1] neg_hi:[0,0,1]
	v_pk_fma_f32 v[26:27], v[26:27], v[20:21], v[42:43] op_sel:[0,0,1] op_sel_hi:[1,0,0]
	v_pk_mul_f32 v[42:43], v[28:29], v[44:45] op_sel_hi:[1,0]
	v_pk_fma_f32 v[44:45], v[30:31], v[16:17], v[46:47] op_sel:[0,0,1] op_sel_hi:[1,1,0] neg_lo:[0,0,1] neg_hi:[0,0,1]
	v_pk_fma_f32 v[30:31], v[30:31], v[16:17], v[46:47] op_sel:[0,0,1] op_sel_hi:[1,0,0]
	v_pk_mul_f32 v[46:47], v[32:33], v[48:49] op_sel_hi:[1,0]
	v_pk_fma_f32 v[48:49], v[34:35], v[40:41], v[50:51] op_sel:[0,0,1] op_sel_hi:[1,1,0] neg_lo:[0,0,1] neg_hi:[0,0,1]
	v_pk_fma_f32 v[34:35], v[34:35], v[40:41], v[50:51] op_sel:[0,0,1] op_sel_hi:[1,0,0]
	v_mov_b32_e32 v53, v27
	v_pk_fma_f32 v[26:27], v[28:29], v[22:23], v[42:43] op_sel:[0,0,1] op_sel_hi:[1,1,0] neg_lo:[0,0,1] neg_hi:[0,0,1]
	v_pk_fma_f32 v[28:29], v[28:29], v[22:23], v[42:43] op_sel:[0,0,1] op_sel_hi:[1,0,0]
	v_mov_b32_e32 v45, v31
	;; [unrolled: 3-line block ×3, first 2 shown]
	v_mov_b32_e32 v27, v29
	v_mov_b32_e32 v31, v33
	v_pk_add_f32 v[28:29], v[44:45], v[48:49]
	v_pk_add_f32 v[32:33], v[44:45], v[48:49] neg_lo:[0,1] neg_hi:[0,1]
	v_pk_add_f32 v[34:35], v[52:53], v[44:45]
	v_pk_add_f32 v[42:43], v[24:25], v[26:27]
	;; [unrolled: 1-line block ×3, first 2 shown]
	v_pk_add_f32 v[26:27], v[26:27], v[30:31] neg_lo:[0,1] neg_hi:[0,1]
	v_pk_fma_f32 v[28:29], v[28:29], 0.5, v[52:53] op_sel_hi:[1,0,1] neg_lo:[1,0,0] neg_hi:[1,0,0]
	v_pk_add_f32 v[30:31], v[42:43], v[30:31]
	v_pk_fma_f32 v[24:25], v[44:45], 0.5, v[24:25] op_sel_hi:[1,0,1] neg_lo:[1,0,0] neg_hi:[1,0,0]
	v_pk_mul_f32 v[26:27], v[26:27], s[6:7] op_sel_hi:[1,0]
	v_pk_fma_f32 v[42:43], v[32:33], s[6:7], v[28:29] op_sel:[0,0,1] op_sel_hi:[1,0,0]
	v_pk_fma_f32 v[28:29], v[32:33], s[6:7], v[28:29] op_sel:[0,0,1] op_sel_hi:[1,0,0] neg_lo:[1,0,0] neg_hi:[1,0,0]
	v_pk_add_f32 v[34:35], v[34:35], v[48:49]
	v_pk_add_f32 v[32:33], v[24:25], v[26:27] op_sel:[0,1] op_sel_hi:[1,0]
	v_pk_add_f32 v[44:45], v[24:25], v[26:27] op_sel:[0,1] op_sel_hi:[1,0] neg_lo:[0,1] neg_hi:[0,1]
	v_mov_b32_e32 v26, v42
	v_mov_b32_e32 v27, v29
	v_pk_mul_f32 v[42:43], v[42:43], s[4:5] op_sel:[1,0]
	v_pk_add_f32 v[24:25], v[30:31], v[34:35]
	v_pk_add_f32 v[30:31], v[30:31], v[34:35] neg_lo:[0,1] neg_hi:[0,1]
	v_mov_b32_e32 v34, v32
	v_mov_b32_e32 v35, v45
	;; [unrolled: 1-line block ×3, first 2 shown]
	v_pk_fma_f32 v[32:33], v[28:29], s[10:11], v[42:43]
	v_pk_fma_f32 v[28:29], v[28:29], s[10:11], v[42:43] op_sel_hi:[0,1,1] neg_lo:[0,0,1] neg_hi:[0,0,1]
	v_pk_mul_f32 v[42:43], v[26:27], 0.5 op_sel_hi:[1,0]
	v_mov_b32_e32 v33, v29
	v_pk_fma_f32 v[42:43], v[26:27], s[6:7], v[42:43] op_sel:[0,0,1] op_sel_hi:[1,1,0] neg_lo:[0,0,1] neg_hi:[0,0,1]
	v_pk_add_f32 v[26:27], v[34:35], v[32:33]
	v_pk_add_f32 v[28:29], v[44:45], v[42:43]
	v_pk_add_f32 v[32:33], v[34:35], v[32:33] neg_lo:[0,1] neg_hi:[0,1]
	v_pk_add_f32 v[34:35], v[44:45], v[42:43] neg_lo:[0,1] neg_hi:[0,1]
	ds_write2_b64 v64, v[24:25], v[26:27] offset1:60
	ds_write2_b64 v64, v[28:29], v[30:31] offset0:120 offset1:180
	ds_write2_b64 v54, v[32:33], v[34:35] offset0:112 offset1:172
	s_waitcnt lgkmcnt(0)
	s_barrier
	s_and_saveexec_b64 s[4:5], vcc
	s_cbranch_execz .LBB0_9
; %bb.8:
	global_load_dwordx2 v[68:69], v62, s[8:9] offset:2880
	s_add_u32 s6, s8, 0xb40
	s_addc_u32 s7, s9, 0
	global_load_dwordx2 v[70:71], v62, s[6:7] offset:288
	global_load_dwordx2 v[72:73], v62, s[6:7] offset:576
	;; [unrolled: 1-line block ×9, first 2 shown]
	v_add_u32_e32 v90, 0x800, v64
	ds_read2_b64 v[42:45], v64 offset1:36
	ds_read2_b64 v[46:49], v64 offset0:72 offset1:108
	ds_read2_b64 v[50:53], v64 offset0:144 offset1:180
	;; [unrolled: 1-line block ×4, first 2 shown]
	s_waitcnt vmcnt(6) lgkmcnt(3)
	v_mul_f32_e32 v91, v49, v75
	s_waitcnt vmcnt(5) lgkmcnt(2)
	v_mul_f32_e32 v92, v51, v77
	s_waitcnt vmcnt(4)
	v_mul_f32_e32 v93, v53, v79
	v_mul_f32_e32 v88, v43, v69
	;; [unrolled: 1-line block ×3, first 2 shown]
	v_fma_f32 v88, v42, v68, -v88
	v_fmac_f32_e32 v89, v43, v68
	v_mul_f32_e32 v42, v45, v71
	v_mul_f32_e32 v43, v44, v71
	;; [unrolled: 1-line block ×7, first 2 shown]
	s_waitcnt vmcnt(3) lgkmcnt(1)
	v_mul_f32_e32 v94, v55, v81
	v_mul_f32_e32 v77, v54, v81
	s_waitcnt vmcnt(2)
	v_mul_f32_e32 v95, v57, v83
	v_mul_f32_e32 v79, v56, v83
	s_waitcnt vmcnt(1) lgkmcnt(0)
	v_mul_f32_e32 v96, v59, v85
	v_mul_f32_e32 v81, v58, v85
	s_waitcnt vmcnt(0)
	v_mul_f32_e32 v85, v61, v87
	v_mul_f32_e32 v83, v60, v87
	v_fma_f32 v42, v44, v70, -v42
	v_fmac_f32_e32 v43, v45, v70
	v_fma_f32 v68, v46, v72, -v68
	v_fmac_f32_e32 v69, v47, v72
	;; [unrolled: 2-line block ×9, first 2 shown]
	ds_write2_b64 v64, v[88:89], v[42:43] offset1:36
	ds_write2_b64 v64, v[68:69], v[70:71] offset0:72 offset1:108
	ds_write2_b64 v64, v[72:73], v[74:75] offset0:144 offset1:180
	;; [unrolled: 1-line block ×4, first 2 shown]
.LBB0_9:
	s_or_b64 exec, exec, s[4:5]
	s_waitcnt lgkmcnt(0)
	s_barrier
	s_and_saveexec_b64 s[4:5], vcc
	s_cbranch_execz .LBB0_11
; %bb.10:
	ds_read2_b64 v[24:27], v64 offset1:36
	ds_read2_b64 v[28:31], v64 offset0:72 offset1:108
	ds_read2_b64 v[32:35], v64 offset0:144 offset1:180
	;; [unrolled: 1-line block ×3, first 2 shown]
	v_add_u32_e32 v12, 0x800, v64
	ds_read2_b64 v[12:15], v12 offset0:32 offset1:68
.LBB0_11:
	s_or_b64 exec, exec, s[4:5]
	v_mov_b32_e32 v60, v4
	v_mov_b32_e32 v61, v4
	;; [unrolled: 1-line block ×30, first 2 shown]
	s_waitcnt lgkmcnt(0)
	s_barrier
	s_and_saveexec_b64 s[4:5], vcc
	s_cbranch_execz .LBB0_13
; %bb.12:
	v_mov_b32_e32 v68, v34
	v_mov_b32_e32 v69, v10
	;; [unrolled: 1-line block ×4, first 2 shown]
	v_pk_add_f32 v[68:69], v[68:69], v[70:71] neg_lo:[0,1] neg_hi:[0,1]
	v_mov_b32_e32 v72, v35
	v_mov_b32_e32 v70, v69
	;; [unrolled: 1-line block ×5, first 2 shown]
	v_pk_add_f32 v[70:71], v[68:69], v[70:71]
	v_pk_add_f32 v[68:69], v[30:31], v[14:15]
	v_pk_add_f32 v[72:73], v[72:73], v[74:75] neg_lo:[0,1] neg_hi:[0,1]
	v_fma_f32 v100, -0.5, v68, v26
	v_mov_b32_e32 v68, v73
	v_pk_add_f32 v[72:73], v[72:73], v[68:69]
	v_fma_f32 v101, -0.5, v69, v27
	v_pk_add_f32 v[68:69], v[24:25], v[28:29]
	v_pk_add_f32 v[88:89], v[28:29], v[32:33] neg_lo:[0,1] neg_hi:[0,1]
	v_pk_add_f32 v[90:91], v[12:13], v[8:9] neg_lo:[0,1] neg_hi:[0,1]
	v_pk_add_f32 v[68:69], v[68:69], v[32:33]
	v_pk_add_f32 v[88:89], v[88:89], v[90:91]
	;; [unrolled: 1-line block ×5, first 2 shown]
	s_mov_b32 s14, 0x3f737871
	v_pk_fma_f32 v[26:27], v[90:91], 0.5, v[26:27] op_sel_hi:[1,0,1] neg_lo:[1,0,0] neg_hi:[1,0,0]
	v_pk_add_f32 v[90:91], v[30:31], v[14:15] neg_lo:[0,1] neg_hi:[0,1]
	v_pk_add_f32 v[76:77], v[68:69], v[12:13]
	v_pk_add_f32 v[68:69], v[74:75], v[34:35]
	s_mov_b32 s6, 0x3f167918
	v_pk_mul_f32 v[92:93], v[90:91], s[14:15] op_sel_hi:[1,0]
	v_pk_add_f32 v[96:97], v[34:35], v[10:11] neg_lo:[0,1] neg_hi:[0,1]
	v_pk_add_f32 v[68:69], v[68:69], v[10:11]
	v_pk_add_f32 v[94:95], v[26:27], v[92:93] op_sel:[0,1] op_sel_hi:[1,0]
	v_pk_mul_f32 v[98:99], v[96:97], s[6:7] op_sel_hi:[1,0]
	v_pk_add_f32 v[30:31], v[30:31], v[34:35] neg_lo:[0,1] neg_hi:[0,1]
	v_pk_add_f32 v[10:11], v[14:15], v[10:11] neg_lo:[0,1] neg_hi:[0,1]
	v_pk_add_f32 v[26:27], v[26:27], v[92:93] op_sel:[0,1] op_sel_hi:[1,0] neg_lo:[0,1] neg_hi:[0,1]
	s_mov_b32 s10, 0x3e9e377a
	v_pk_add_f32 v[94:95], v[98:99], v[94:95] op_sel:[1,0] op_sel_hi:[0,1]
	v_pk_add_f32 v[10:11], v[30:31], v[10:11]
	v_pk_add_f32 v[26:27], v[26:27], v[98:99] op_sel:[0,1] op_sel_hi:[1,0] neg_lo:[0,1] neg_hi:[0,1]
	v_pk_add_f32 v[74:75], v[68:69], v[14:15]
	v_pk_fma_f32 v[14:15], v[10:11], s[10:11], v[94:95] op_sel_hi:[1,0,1]
	v_pk_fma_f32 v[30:31], v[10:11], s[10:11], v[26:27] op_sel_hi:[1,0,1]
	v_mov_b32_e32 v71, v91
	s_mov_b32 s11, s6
	v_pk_mul_f32 v[34:35], v[70:71], s[10:11]
	v_fmamk_f32 v27, v97, 0xbf737871, v100
	v_add_f32_e32 v27, v35, v27
	v_mov_b32_e32 v73, v90
	v_add_f32_e32 v92, v34, v27
	v_fmamk_f32 v27, v96, 0x3f737871, v101
	v_pk_mul_f32 v[70:71], v[72:73], s[10:11]
	v_fmac_f32_e32 v100, 0x3f737871, v97
	v_sub_f32_e32 v27, v27, v71
	v_add_f32_e32 v72, v70, v27
	v_sub_f32_e32 v27, v100, v35
	v_fmac_f32_e32 v101, 0xbf737871, v96
	v_pk_add_f32 v[78:79], v[32:33], v[8:9]
	v_pk_add_f32 v[80:81], v[28:29], v[12:13] neg_lo:[0,1] neg_hi:[0,1]
	v_add_f32_e32 v34, v34, v27
	v_add_f32_e32 v27, v71, v101
	v_pk_fma_f32 v[78:79], v[78:79], 0.5, v[24:25] op_sel_hi:[1,0,1] neg_lo:[1,0,0] neg_hi:[1,0,0]
	v_pk_mul_f32 v[82:83], v[80:81], s[14:15] op_sel_hi:[1,0]
	v_pk_add_f32 v[84:85], v[32:33], v[8:9] neg_lo:[0,1] neg_hi:[0,1]
	v_add_f32_e32 v90, v70, v27
	v_mov_b32_e32 v27, v95
	v_pk_mul_f32 v[86:87], v[84:85], s[6:7] op_sel_hi:[1,0]
	v_pk_fma_f32 v[10:11], v[10:11], s[10:11], v[26:27] op_sel_hi:[1,0,1]
	v_pk_add_f32 v[26:27], v[78:79], v[82:83] op_sel:[0,1] op_sel_hi:[1,0] neg_lo:[0,1] neg_hi:[0,1]
	v_pk_add_f32 v[70:71], v[78:79], v[82:83] op_sel:[0,1] op_sel_hi:[1,0]
	v_pk_add_f32 v[26:27], v[26:27], v[86:87] op_sel:[0,1] op_sel_hi:[1,0] neg_lo:[0,1] neg_hi:[0,1]
	v_pk_add_f32 v[78:79], v[70:71], v[86:87] op_sel:[0,1] op_sel_hi:[1,0]
	v_mov_b32_e32 v70, v26
	v_mov_b32_e32 v71, v79
	v_pk_fma_f32 v[82:83], v[88:89], s[10:11], v[70:71] op_sel_hi:[1,0,1]
	s_mov_b32 s16, 0x3f4f1bbd
	v_pk_mul_f32 v[70:71], v[10:11], s[6:7] op_sel_hi:[1,0]
	v_pk_add_f32 v[8:9], v[8:9], v[12:13] neg_lo:[0,1] neg_hi:[0,1]
	v_pk_fma_f32 v[86:87], v[10:11], s[16:17], v[70:71] op_sel:[0,0,1] op_sel_hi:[1,0,0] neg_lo:[0,0,1] neg_hi:[0,0,1]
	v_pk_fma_f32 v[10:11], v[10:11], s[16:17], v[70:71] op_sel:[0,0,1] op_sel_hi:[1,0,0]
	s_mov_b32 s16, 0xbe9e377a
	v_mov_b32_e32 v87, v11
	v_pk_add_f32 v[10:11], v[32:33], v[28:29] neg_lo:[0,1] neg_hi:[0,1]
	s_mov_b32 s17, s14
	v_pk_add_f32 v[10:11], v[10:11], v[8:9]
	v_pk_add_f32 v[8:9], v[28:29], v[12:13]
	v_pk_mul_f32 v[12:13], v[84:85], s[14:15] op_sel_hi:[1,0]
	v_pk_fma_f32 v[8:9], v[8:9], 0.5, v[24:25] op_sel_hi:[1,0,1] neg_lo:[1,0,0] neg_hi:[1,0,0]
	v_pk_mul_f32 v[24:25], v[80:81], s[6:7] op_sel_hi:[1,0]
	v_pk_add_f32 v[28:29], v[8:9], v[12:13] op_sel:[0,1] op_sel_hi:[1,0]
	v_pk_add_f32 v[8:9], v[8:9], v[12:13] op_sel:[0,1] op_sel_hi:[1,0] neg_lo:[0,1] neg_hi:[0,1]
	s_mov_b32 s15, s10
	v_pk_add_f32 v[12:13], v[8:9], v[24:25] op_sel:[0,1] op_sel_hi:[1,0]
	v_pk_add_f32 v[24:25], v[28:29], v[24:25] op_sel:[0,1] op_sel_hi:[1,0] neg_lo:[0,1] neg_hi:[0,1]
	v_mov_b32_e32 v9, v13
	v_mov_b32_e32 v8, v24
	v_pk_fma_f32 v[28:29], v[10:11], s[10:11], v[8:9] op_sel_hi:[1,0,1]
	s_mov_b32 s11, s14
	v_pk_mul_f32 v[8:9], v[90:91], s[14:15] op_sel_hi:[0,1]
	v_pk_fma_f32 v[32:33], v[34:35], s[10:11], v[8:9] neg_lo:[0,0,1] neg_hi:[0,0,1]
	v_pk_fma_f32 v[8:9], v[34:35], s[10:11], v[8:9] op_sel_hi:[0,1,1]
	v_pk_mul_f32 v[34:35], v[72:73], s[14:15] op_sel_hi:[0,1]
	v_mov_b32_e32 v13, v25
	v_mov_b32_e32 v79, v27
	;; [unrolled: 1-line block ×3, first 2 shown]
	v_pk_fma_f32 v[34:35], v[92:93], s[16:17], v[34:35] op_sel_hi:[0,1,1] neg_lo:[0,0,1] neg_hi:[0,0,1]
	v_pk_fma_f32 v[12:13], v[10:11], s[10:11], v[12:13] op_sel_hi:[1,0,1]
	v_pk_fma_f32 v[24:25], v[88:89], s[10:11], v[78:79] op_sel_hi:[1,0,1]
	s_mov_b32 s10, 0xbf4f1bbd
	v_lshl_add_u32 v63, v67, 3, v63
	v_pk_add_f32 v[8:9], v[28:29], v[32:33]
	v_pk_add_f32 v[10:11], v[12:13], v[34:35]
	s_mov_b32 s11, s6
	s_mov_b32 s6, 0xbf167918
	;; [unrolled: 1-line block ×3, first 2 shown]
	ds_write_b128 v63, v[8:11] offset:16
	v_pk_mul_f32 v[8:9], v[30:31], s[6:7] op_sel:[1,0]
	v_pk_add_f32 v[10:11], v[76:77], v[74:75] neg_lo:[0,1] neg_hi:[0,1]
	v_pk_fma_f32 v[14:15], v[14:15], s[10:11], v[8:9] op_sel_hi:[0,1,1]
	v_pk_add_f32 v[8:9], v[24:25], v[14:15]
	ds_write_b128 v63, v[8:11] offset:32
	v_pk_add_f32 v[8:9], v[82:83], v[86:87] neg_lo:[0,1] neg_hi:[0,1]
	v_pk_add_f32 v[10:11], v[28:29], v[32:33] neg_lo:[0,1] neg_hi:[0,1]
	v_pk_add_f32 v[68:69], v[76:77], v[74:75]
	v_pk_add_f32 v[70:71], v[82:83], v[86:87]
	ds_write_b128 v63, v[8:11] offset:48
	v_pk_add_f32 v[8:9], v[12:13], v[34:35] neg_lo:[0,1] neg_hi:[0,1]
	v_pk_add_f32 v[10:11], v[24:25], v[14:15] neg_lo:[0,1] neg_hi:[0,1]
	ds_write_b128 v63, v[68:71]
	ds_write_b128 v63, v[8:11] offset:64
.LBB0_13:
	s_or_b64 exec, exec, s[4:5]
	s_waitcnt lgkmcnt(0)
	s_barrier
	ds_read2_b64 v[8:11], v65 offset1:60
	ds_read2_b64 v[12:15], v65 offset0:120 offset1:180
	v_add_u32_e32 v30, 0x400, v65
	ds_read2_b64 v[24:27], v30 offset0:112 offset1:172
	s_mov_b32 s6, 0x3f5db3d7
	s_waitcnt lgkmcnt(2)
	v_pk_mul_f32 v[4:5], v[4:5], v[10:11]
	s_waitcnt lgkmcnt(1)
	v_pk_mul_f32 v[6:7], v[6:7], v[12:13]
	v_pk_fma_f32 v[28:29], v[60:61], v[10:11], v[4:5] op_sel:[0,0,1] op_sel_hi:[1,1,0]
	v_pk_fma_f32 v[4:5], v[60:61], v[10:11], v[4:5] op_sel:[0,0,1] op_sel_hi:[1,1,0] neg_lo:[0,0,1] neg_hi:[0,0,1]
	v_pk_fma_f32 v[10:11], v[58:59], v[12:13], v[6:7] op_sel:[0,0,1] op_sel_hi:[1,1,0]
	v_pk_fma_f32 v[6:7], v[58:59], v[12:13], v[6:7] op_sel:[0,0,1] op_sel_hi:[1,1,0] neg_lo:[0,0,1] neg_hi:[0,0,1]
	v_pk_mul_f32 v[0:1], v[0:1], v[14:15]
	v_mov_b32_e32 v11, v7
	v_pk_fma_f32 v[6:7], v[56:57], v[14:15], v[0:1] op_sel:[0,0,1] op_sel_hi:[1,1,0]
	v_pk_fma_f32 v[0:1], v[56:57], v[14:15], v[0:1] op_sel:[0,0,1] op_sel_hi:[1,1,0] neg_lo:[0,0,1] neg_hi:[0,0,1]
	v_mov_b32_e32 v29, v5
	v_mov_b32_e32 v7, v1
	s_waitcnt lgkmcnt(0)
	v_pk_mul_f32 v[0:1], v[2:3], v[24:25]
	v_mov_b32_e32 v4, v28
	v_pk_fma_f32 v[2:3], v[54:55], v[24:25], v[0:1] op_sel:[0,0,1] op_sel_hi:[1,1,0]
	v_pk_fma_f32 v[0:1], v[54:55], v[24:25], v[0:1] op_sel:[0,0,1] op_sel_hi:[1,1,0] neg_lo:[0,0,1] neg_hi:[0,0,1]
	s_mov_b32 s10, 0.5
	v_mov_b32_e32 v3, v1
	v_pk_mul_f32 v[0:1], v[38:39], v[26:27]
	s_mov_b32 s11, s6
	v_pk_fma_f32 v[12:13], v[52:53], v[26:27], v[0:1] op_sel:[0,0,1] op_sel_hi:[1,1,0]
	v_pk_fma_f32 v[0:1], v[52:53], v[26:27], v[0:1] op_sel:[0,0,1] op_sel_hi:[1,1,0] neg_lo:[0,0,1] neg_hi:[0,0,1]
	v_pk_add_f32 v[26:27], v[10:11], v[2:3]
	v_mov_b32_e32 v13, v1
	v_pk_add_f32 v[0:1], v[8:9], v[10:11]
	v_pk_add_f32 v[14:15], v[6:7], v[12:13]
	;; [unrolled: 1-line block ×3, first 2 shown]
	v_pk_add_f32 v[24:25], v[6:7], v[12:13] neg_lo:[0,1] neg_hi:[0,1]
	v_pk_add_f32 v[6:7], v[28:29], v[6:7]
	v_fmac_f32_e32 v5, -0.5, v15
	v_pk_add_f32 v[2:3], v[10:11], v[2:3] neg_lo:[0,1] neg_hi:[0,1]
	v_fmac_f32_e32 v4, -0.5, v14
	v_pk_add_f32 v[6:7], v[6:7], v[12:13]
	v_fmamk_f32 v12, v24, 0x3f5db3d7, v5
	v_pk_mul_f32 v[2:3], v[2:3], s[6:7] op_sel_hi:[1,0]
	s_mov_b32 s7, s10
	v_fmamk_f32 v14, v25, 0xbf5db3d7, v4
	v_pk_fma_f32 v[8:9], v[26:27], 0.5, v[8:9] op_sel_hi:[1,0,1] neg_lo:[1,0,0] neg_hi:[1,0,0]
	v_pk_mul_f32 v[12:13], v[12:13], s[6:7] op_sel_hi:[0,1]
	v_pk_add_f32 v[10:11], v[8:9], v[2:3] op_sel:[0,1] op_sel_hi:[1,0] neg_lo:[0,1] neg_hi:[0,1]
	v_pk_add_f32 v[2:3], v[8:9], v[2:3] op_sel:[0,1] op_sel_hi:[1,0]
	v_pk_fma_f32 v[26:27], v[14:15], s[10:11], v[12:13] neg_lo:[0,0,1] neg_hi:[0,0,1]
	v_pk_fma_f32 v[12:13], v[14:15], s[10:11], v[12:13] op_sel_hi:[0,1,1]
	v_fmac_f32_e32 v5, 0xbf5db3d7, v24
	v_mov_b32_e32 v8, v10
	v_mov_b32_e32 v9, v3
	;; [unrolled: 1-line block ×3, first 2 shown]
	v_fmac_f32_e32 v4, 0x3f5db3d7, v25
	v_pk_add_f32 v[24:25], v[0:1], v[6:7]
	v_pk_add_f32 v[12:13], v[8:9], v[26:27]
	v_mov_b32_e32 v10, v5
	s_mov_b32 s4, -0.5
	s_barrier
	ds_write2_b64 v66, v[24:25], v[12:13] offset1:10
	s_mov_b32 s5, s6
	v_pk_mul_f32 v[12:13], v[10:11], s[6:7] op_sel_hi:[0,1]
	v_pk_fma_f32 v[4:5], v[4:5], s[4:5], v[12:13] op_sel_hi:[0,1,1] neg_lo:[0,0,1] neg_hi:[0,0,1]
	v_mov_b32_e32 v3, v11
	v_pk_add_f32 v[10:11], v[2:3], v[4:5]
	v_pk_add_f32 v[0:1], v[0:1], v[6:7] neg_lo:[0,1] neg_hi:[0,1]
	ds_write2_b64 v66, v[10:11], v[0:1] offset0:20 offset1:30
	v_pk_add_f32 v[0:1], v[8:9], v[26:27] neg_lo:[0,1] neg_hi:[0,1]
	v_pk_add_f32 v[2:3], v[2:3], v[4:5] neg_lo:[0,1] neg_hi:[0,1]
	ds_write2_b64 v66, v[0:1], v[2:3] offset0:40 offset1:50
	s_waitcnt lgkmcnt(0)
	s_barrier
	ds_read2_b64 v[0:3], v65 offset1:60
	ds_read2_b64 v[4:7], v65 offset0:120 offset1:180
	ds_read2_b64 v[8:11], v30 offset0:112 offset1:172
	s_waitcnt lgkmcnt(2)
	v_pk_mul_f32 v[12:13], v[20:21], v[2:3]
	s_nop 0
	v_pk_fma_f32 v[14:15], v[50:51], v[2:3], v[12:13] op_sel:[0,0,1] op_sel_hi:[1,1,0]
	v_pk_fma_f32 v[2:3], v[50:51], v[2:3], v[12:13] op_sel:[0,0,1] op_sel_hi:[1,1,0] neg_lo:[0,0,1] neg_hi:[0,0,1]
	s_waitcnt lgkmcnt(1)
	v_pk_mul_f32 v[12:13], v[22:23], v[4:5]
	v_mov_b32_e32 v15, v3
	v_pk_fma_f32 v[20:21], v[48:49], v[4:5], v[12:13] op_sel:[0,0,1] op_sel_hi:[1,1,0]
	v_pk_fma_f32 v[4:5], v[48:49], v[4:5], v[12:13] op_sel:[0,0,1] op_sel_hi:[1,1,0] neg_lo:[0,0,1] neg_hi:[0,0,1]
	v_mov_b32_e32 v2, v14
	v_mov_b32_e32 v21, v5
	v_pk_mul_f32 v[4:5], v[16:17], v[6:7]
	s_nop 0
	v_pk_fma_f32 v[12:13], v[46:47], v[6:7], v[4:5] op_sel:[0,0,1] op_sel_hi:[1,1,0]
	v_pk_fma_f32 v[4:5], v[46:47], v[6:7], v[4:5] op_sel:[0,0,1] op_sel_hi:[1,1,0] neg_lo:[0,0,1] neg_hi:[0,0,1]
	s_nop 0
	v_mov_b32_e32 v13, v5
	s_waitcnt lgkmcnt(0)
	v_pk_mul_f32 v[4:5], v[18:19], v[8:9]
	s_nop 0
	v_pk_fma_f32 v[6:7], v[44:45], v[8:9], v[4:5] op_sel:[0,0,1] op_sel_hi:[1,1,0]
	v_pk_fma_f32 v[4:5], v[44:45], v[8:9], v[4:5] op_sel:[0,0,1] op_sel_hi:[1,1,0] neg_lo:[0,0,1] neg_hi:[0,0,1]
	s_nop 0
	v_mov_b32_e32 v7, v5
	v_pk_mul_f32 v[4:5], v[40:41], v[10:11]
	s_nop 0
	v_pk_fma_f32 v[8:9], v[42:43], v[10:11], v[4:5] op_sel:[0,0,1] op_sel_hi:[1,1,0]
	v_pk_fma_f32 v[4:5], v[42:43], v[10:11], v[4:5] op_sel:[0,0,1] op_sel_hi:[1,1,0] neg_lo:[0,0,1] neg_hi:[0,0,1]
	s_nop 0
	v_mov_b32_e32 v9, v5
	v_pk_add_f32 v[10:11], v[12:13], v[8:9]
	v_pk_add_f32 v[4:5], v[0:1], v[20:21]
	v_fmac_f32_e32 v2, -0.5, v10
	v_pk_add_f32 v[16:17], v[12:13], v[8:9] neg_lo:[0,1] neg_hi:[0,1]
	v_pk_add_f32 v[12:13], v[14:15], v[12:13]
	v_fmac_f32_e32 v3, -0.5, v11
	v_pk_add_f32 v[4:5], v[4:5], v[6:7]
	v_fmamk_f32 v10, v17, 0xbf5db3d7, v2
	v_fmac_f32_e32 v2, 0x3f5db3d7, v17
	v_pk_add_f32 v[8:9], v[12:13], v[8:9]
	v_fmamk_f32 v12, v16, 0x3f5db3d7, v3
	v_fmac_f32_e32 v3, 0xbf5db3d7, v16
	v_pk_add_f32 v[16:17], v[20:21], v[6:7]
	v_pk_add_f32 v[6:7], v[20:21], v[6:7] neg_lo:[0,1] neg_hi:[0,1]
	v_pk_fma_f32 v[0:1], v[16:17], 0.5, v[0:1] op_sel_hi:[1,0,1] neg_lo:[1,0,0] neg_hi:[1,0,0]
	v_pk_mul_f32 v[6:7], v[6:7], s[6:7] op_sel_hi:[1,0]
	v_pk_mul_f32 v[12:13], v[12:13], s[6:7] op_sel_hi:[0,1]
	v_pk_add_f32 v[16:17], v[0:1], v[6:7] op_sel:[0,1] op_sel_hi:[1,0] neg_lo:[0,1] neg_hi:[0,1]
	v_pk_add_f32 v[0:1], v[0:1], v[6:7] op_sel:[0,1] op_sel_hi:[1,0]
	v_pk_fma_f32 v[18:19], v[10:11], s[10:11], v[12:13] neg_lo:[0,0,1] neg_hi:[0,0,1]
	v_pk_fma_f32 v[10:11], v[10:11], s[10:11], v[12:13] op_sel_hi:[0,1,1]
	v_mov_b32_e32 v6, v16
	v_mov_b32_e32 v7, v1
	;; [unrolled: 1-line block ×3, first 2 shown]
	v_pk_add_f32 v[14:15], v[4:5], v[8:9]
	v_pk_add_f32 v[10:11], v[6:7], v[18:19]
	ds_write2_b64 v64, v[14:15], v[10:11] offset1:60
	v_mov_b32_e32 v10, v3
	v_pk_mul_f32 v[10:11], v[10:11], s[6:7] op_sel_hi:[0,1]
	v_pk_fma_f32 v[2:3], v[2:3], s[4:5], v[10:11] op_sel_hi:[0,1,1] neg_lo:[0,0,1] neg_hi:[0,0,1]
	v_mov_b32_e32 v1, v17
	v_pk_add_f32 v[10:11], v[0:1], v[2:3]
	v_pk_add_f32 v[4:5], v[4:5], v[8:9] neg_lo:[0,1] neg_hi:[0,1]
	ds_write2_b64 v64, v[10:11], v[4:5] offset0:120 offset1:180
	v_pk_add_f32 v[4:5], v[6:7], v[18:19] neg_lo:[0,1] neg_hi:[0,1]
	v_pk_add_f32 v[2:3], v[0:1], v[2:3] neg_lo:[0,1] neg_hi:[0,1]
	v_add_u32_e32 v0, 0x400, v64
	ds_write2_b64 v0, v[4:5], v[2:3] offset0:112 offset1:172
	s_waitcnt lgkmcnt(0)
	s_barrier
	s_and_b64 exec, exec, vcc
	s_cbranch_execz .LBB0_15
; %bb.14:
	global_load_dwordx2 v[10:11], v62, s[8:9]
	global_load_dwordx2 v[12:13], v62, s[8:9] offset:288
	global_load_dwordx2 v[14:15], v62, s[8:9] offset:576
	;; [unrolled: 1-line block ×4, first 2 shown]
	ds_read2_b64 v[2:5], v64 offset0:36 offset1:72
	ds_read2_b64 v[6:9], v64 offset0:108 offset1:144
	global_load_dwordx2 v[26:27], v62, s[8:9] offset:1440
	global_load_dwordx2 v[28:29], v62, s[8:9] offset:1728
	;; [unrolled: 1-line block ×3, first 2 shown]
	ds_read_b64 v[32:33], v64
	ds_read_b64 v[34:35], v64 offset:2592
	global_load_dwordx2 v[38:39], v62, s[8:9] offset:2304
	global_load_dwordx2 v[40:41], v62, s[8:9] offset:2592
	v_mad_u64_u32 v[22:23], s[4:5], s2, v36, 0
	v_mad_u64_u32 v[24:25], s[6:7], s0, v37, 0
	v_mov_b32_e32 v42, v23
	v_mov_b32_e32 v45, 0x120
	;; [unrolled: 1-line block ×3, first 2 shown]
	v_mad_u64_u32 v[42:43], s[6:7], s3, v36, v[42:43]
	v_mov_b32_e32 v18, s12
	v_mov_b32_e32 v19, s13
	v_mad_u64_u32 v[36:37], s[6:7], s1, v37, v[44:45]
	v_mov_b32_e32 v23, v42
	v_mov_b32_e32 v25, v36
	v_lshl_add_u64 v[18:19], v[22:23], 3, v[18:19]
	v_lshl_add_u64 v[18:19], v[24:25], 3, v[18:19]
	s_mul_i32 s2, s1, 0x120
	v_mad_u64_u32 v[22:23], s[6:7], s0, v45, v[18:19]
	s_mov_b32 s4, 0x16c16c17
	v_add_u32_e32 v23, s2, v23
	s_mov_b32 s5, 0x3f66c16c
	v_mad_u64_u32 v[24:25], s[6:7], s0, v45, v[22:23]
	v_add_u32_e32 v25, s2, v25
	v_mad_u64_u32 v[36:37], s[6:7], s0, v45, v[24:25]
	v_add_u32_e32 v37, s2, v37
	s_waitcnt vmcnt(9) lgkmcnt(1)
	v_mul_f32_e32 v1, v33, v11
	v_mul_f32_e32 v11, v32, v11
	s_waitcnt vmcnt(8)
	v_mul_f32_e32 v42, v3, v13
	v_mul_f32_e32 v13, v2, v13
	s_waitcnt vmcnt(7)
	;; [unrolled: 3-line block ×3, first 2 shown]
	v_mul_f32_e32 v44, v7, v17
	v_mul_f32_e32 v17, v6, v17
	v_fmac_f32_e32 v1, v32, v10
	v_fma_f32 v10, v10, v33, -v11
	v_fmac_f32_e32 v42, v2, v12
	v_fma_f32 v11, v12, v3, -v13
	v_fmac_f32_e32 v43, v4, v14
	v_fma_f32 v14, v14, v5, -v15
	v_fmac_f32_e32 v44, v6, v16
	v_fma_f32 v32, v16, v7, -v17
	v_cvt_f64_f32_e32 v[2:3], v1
	v_cvt_f64_f32_e32 v[4:5], v10
	;; [unrolled: 1-line block ×8, first 2 shown]
	v_mul_f64 v[2:3], v[2:3], s[4:5]
	v_mul_f64 v[4:5], v[4:5], s[4:5]
	s_waitcnt vmcnt(5)
	v_mul_f32_e32 v1, v9, v21
	v_mul_f64 v[6:7], v[6:7], s[4:5]
	v_mul_f64 v[10:11], v[10:11], s[4:5]
	;; [unrolled: 1-line block ×6, first 2 shown]
	v_cvt_f32_f64_e32 v2, v[2:3]
	v_cvt_f32_f64_e32 v3, v[4:5]
	v_fmac_f32_e32 v1, v8, v20
	v_cvt_f32_f64_e32 v4, v[6:7]
	v_cvt_f32_f64_e32 v5, v[10:11]
	;; [unrolled: 1-line block ×6, first 2 shown]
	global_store_dwordx2 v[18:19], v[2:3], off
	global_store_dwordx2 v[22:23], v[4:5], off
	;; [unrolled: 1-line block ×4, first 2 shown]
	v_cvt_f64_f32_e32 v[2:3], v1
	v_mul_f32_e32 v1, v8, v21
	v_mul_f64 v[2:3], v[2:3], s[4:5]
	v_fma_f32 v1, v20, v9, -v1
	v_cvt_f32_f64_e32 v6, v[2:3]
	v_cvt_f64_f32_e32 v[2:3], v1
	v_mul_f64 v[2:3], v[2:3], s[4:5]
	v_cvt_f32_f64_e32 v7, v[2:3]
	ds_read2_b64 v[2:5], v64 offset0:180 offset1:216
	v_mad_u64_u32 v[8:9], s[6:7], s0, v45, v[36:37]
	v_add_u32_e32 v9, s2, v9
	global_store_dwordx2 v[8:9], v[6:7], off
	s_waitcnt vmcnt(9) lgkmcnt(0)
	v_mul_f32_e32 v1, v3, v27
	v_fmac_f32_e32 v1, v2, v26
	v_cvt_f64_f32_e32 v[6:7], v1
	v_mul_f32_e32 v1, v2, v27
	v_fma_f32 v1, v26, v3, -v1
	v_cvt_f64_f32_e32 v[2:3], v1
	s_waitcnt vmcnt(8)
	v_mul_f32_e32 v1, v5, v29
	v_mul_f64 v[6:7], v[6:7], s[4:5]
	v_mul_f64 v[2:3], v[2:3], s[4:5]
	v_fmac_f32_e32 v1, v4, v28
	v_cvt_f32_f64_e32 v6, v[6:7]
	v_cvt_f32_f64_e32 v7, v[2:3]
	v_mad_u64_u32 v[8:9], s[6:7], s0, v45, v[8:9]
	v_cvt_f64_f32_e32 v[2:3], v1
	v_mul_f32_e32 v1, v4, v29
	v_add_u32_e32 v9, s2, v9
	v_mul_f64 v[2:3], v[2:3], s[4:5]
	v_fma_f32 v1, v28, v5, -v1
	global_store_dwordx2 v[8:9], v[6:7], off
	v_cvt_f32_f64_e32 v6, v[2:3]
	v_cvt_f64_f32_e32 v[2:3], v1
	v_mul_f64 v[2:3], v[2:3], s[4:5]
	v_cvt_f32_f64_e32 v7, v[2:3]
	ds_read2_b64 v[0:3], v0 offset0:124 offset1:160
	v_mad_u64_u32 v[4:5], s[6:7], s0, v45, v[8:9]
	v_add_u32_e32 v5, s2, v5
	global_store_dwordx2 v[4:5], v[6:7], off
	s_waitcnt vmcnt(9) lgkmcnt(0)
	v_mul_f32_e32 v6, v1, v31
	v_fmac_f32_e32 v6, v0, v30
	v_mul_f32_e32 v0, v0, v31
	v_fma_f32 v0, v30, v1, -v0
	v_cvt_f64_f32_e32 v[6:7], v6
	v_cvt_f64_f32_e32 v[0:1], v0
	v_mul_f64 v[6:7], v[6:7], s[4:5]
	v_mul_f64 v[0:1], v[0:1], s[4:5]
	v_cvt_f32_f64_e32 v6, v[6:7]
	v_cvt_f32_f64_e32 v7, v[0:1]
	v_mad_u64_u32 v[0:1], s[6:7], s0, v45, v[4:5]
	s_waitcnt vmcnt(8)
	v_mul_f32_e32 v4, v3, v39
	v_fmac_f32_e32 v4, v2, v38
	v_mul_f32_e32 v2, v2, v39
	v_fma_f32 v2, v38, v3, -v2
	v_cvt_f64_f32_e32 v[4:5], v4
	v_cvt_f64_f32_e32 v[2:3], v2
	v_mul_f64 v[4:5], v[4:5], s[4:5]
	v_mul_f64 v[2:3], v[2:3], s[4:5]
	v_cvt_f32_f64_e32 v4, v[4:5]
	v_cvt_f32_f64_e32 v5, v[2:3]
	s_waitcnt vmcnt(7)
	v_mul_f32_e32 v2, v35, v41
	v_fmac_f32_e32 v2, v34, v40
	v_cvt_f64_f32_e32 v[2:3], v2
	v_add_u32_e32 v1, s2, v1
	v_mul_f64 v[2:3], v[2:3], s[4:5]
	global_store_dwordx2 v[0:1], v[6:7], off
	v_mad_u64_u32 v[0:1], s[6:7], s0, v45, v[0:1]
	v_cvt_f32_f64_e32 v2, v[2:3]
	v_mul_f32_e32 v3, v34, v41
	v_add_u32_e32 v1, s2, v1
	v_fma_f32 v3, v40, v35, -v3
	global_store_dwordx2 v[0:1], v[4:5], off
	v_cvt_f64_f32_e32 v[4:5], v3
	v_mul_f64 v[4:5], v[4:5], s[4:5]
	v_mad_u64_u32 v[0:1], s[0:1], s0, v45, v[0:1]
	v_cvt_f32_f64_e32 v3, v[4:5]
	v_add_u32_e32 v1, s2, v1
	global_store_dwordx2 v[0:1], v[2:3], off
.LBB0_15:
	s_endpgm
	.section	.rodata,"a",@progbits
	.p2align	6, 0x0
	.amdhsa_kernel bluestein_single_fwd_len360_dim1_sp_op_CI_CI
		.amdhsa_group_segment_fixed_size 11520
		.amdhsa_private_segment_fixed_size 0
		.amdhsa_kernarg_size 104
		.amdhsa_user_sgpr_count 2
		.amdhsa_user_sgpr_dispatch_ptr 0
		.amdhsa_user_sgpr_queue_ptr 0
		.amdhsa_user_sgpr_kernarg_segment_ptr 1
		.amdhsa_user_sgpr_dispatch_id 0
		.amdhsa_user_sgpr_kernarg_preload_length 0
		.amdhsa_user_sgpr_kernarg_preload_offset 0
		.amdhsa_user_sgpr_private_segment_size 0
		.amdhsa_uses_dynamic_stack 0
		.amdhsa_enable_private_segment 0
		.amdhsa_system_sgpr_workgroup_id_x 1
		.amdhsa_system_sgpr_workgroup_id_y 0
		.amdhsa_system_sgpr_workgroup_id_z 0
		.amdhsa_system_sgpr_workgroup_info 0
		.amdhsa_system_vgpr_workitem_id 0
		.amdhsa_next_free_vgpr 102
		.amdhsa_next_free_sgpr 18
		.amdhsa_accum_offset 104
		.amdhsa_reserve_vcc 1
		.amdhsa_float_round_mode_32 0
		.amdhsa_float_round_mode_16_64 0
		.amdhsa_float_denorm_mode_32 3
		.amdhsa_float_denorm_mode_16_64 3
		.amdhsa_dx10_clamp 1
		.amdhsa_ieee_mode 1
		.amdhsa_fp16_overflow 0
		.amdhsa_tg_split 0
		.amdhsa_exception_fp_ieee_invalid_op 0
		.amdhsa_exception_fp_denorm_src 0
		.amdhsa_exception_fp_ieee_div_zero 0
		.amdhsa_exception_fp_ieee_overflow 0
		.amdhsa_exception_fp_ieee_underflow 0
		.amdhsa_exception_fp_ieee_inexact 0
		.amdhsa_exception_int_div_zero 0
	.end_amdhsa_kernel
	.text
.Lfunc_end0:
	.size	bluestein_single_fwd_len360_dim1_sp_op_CI_CI, .Lfunc_end0-bluestein_single_fwd_len360_dim1_sp_op_CI_CI
                                        ; -- End function
	.section	.AMDGPU.csdata,"",@progbits
; Kernel info:
; codeLenInByte = 6388
; NumSgprs: 24
; NumVgprs: 102
; NumAgprs: 0
; TotalNumVgprs: 102
; ScratchSize: 0
; MemoryBound: 0
; FloatMode: 240
; IeeeMode: 1
; LDSByteSize: 11520 bytes/workgroup (compile time only)
; SGPRBlocks: 2
; VGPRBlocks: 12
; NumSGPRsForWavesPerEU: 24
; NumVGPRsForWavesPerEU: 102
; AccumOffset: 104
; Occupancy: 4
; WaveLimiterHint : 1
; COMPUTE_PGM_RSRC2:SCRATCH_EN: 0
; COMPUTE_PGM_RSRC2:USER_SGPR: 2
; COMPUTE_PGM_RSRC2:TRAP_HANDLER: 0
; COMPUTE_PGM_RSRC2:TGID_X_EN: 1
; COMPUTE_PGM_RSRC2:TGID_Y_EN: 0
; COMPUTE_PGM_RSRC2:TGID_Z_EN: 0
; COMPUTE_PGM_RSRC2:TIDIG_COMP_CNT: 0
; COMPUTE_PGM_RSRC3_GFX90A:ACCUM_OFFSET: 25
; COMPUTE_PGM_RSRC3_GFX90A:TG_SPLIT: 0
	.text
	.p2alignl 6, 3212836864
	.fill 256, 4, 3212836864
	.type	__hip_cuid_ea38ff35f9ec1ddb,@object ; @__hip_cuid_ea38ff35f9ec1ddb
	.section	.bss,"aw",@nobits
	.globl	__hip_cuid_ea38ff35f9ec1ddb
__hip_cuid_ea38ff35f9ec1ddb:
	.byte	0                               ; 0x0
	.size	__hip_cuid_ea38ff35f9ec1ddb, 1

	.ident	"AMD clang version 19.0.0git (https://github.com/RadeonOpenCompute/llvm-project roc-6.4.0 25133 c7fe45cf4b819c5991fe208aaa96edf142730f1d)"
	.section	".note.GNU-stack","",@progbits
	.addrsig
	.addrsig_sym __hip_cuid_ea38ff35f9ec1ddb
	.amdgpu_metadata
---
amdhsa.kernels:
  - .agpr_count:     0
    .args:
      - .actual_access:  read_only
        .address_space:  global
        .offset:         0
        .size:           8
        .value_kind:     global_buffer
      - .actual_access:  read_only
        .address_space:  global
        .offset:         8
        .size:           8
        .value_kind:     global_buffer
      - .actual_access:  read_only
        .address_space:  global
        .offset:         16
        .size:           8
        .value_kind:     global_buffer
      - .actual_access:  read_only
        .address_space:  global
        .offset:         24
        .size:           8
        .value_kind:     global_buffer
      - .actual_access:  read_only
        .address_space:  global
        .offset:         32
        .size:           8
        .value_kind:     global_buffer
      - .offset:         40
        .size:           8
        .value_kind:     by_value
      - .address_space:  global
        .offset:         48
        .size:           8
        .value_kind:     global_buffer
      - .address_space:  global
        .offset:         56
        .size:           8
        .value_kind:     global_buffer
      - .address_space:  global
        .offset:         64
        .size:           8
        .value_kind:     global_buffer
      - .address_space:  global
        .offset:         72
        .size:           8
        .value_kind:     global_buffer
      - .offset:         80
        .size:           4
        .value_kind:     by_value
      - .address_space:  global
        .offset:         88
        .size:           8
        .value_kind:     global_buffer
      - .address_space:  global
        .offset:         96
        .size:           8
        .value_kind:     global_buffer
    .group_segment_fixed_size: 11520
    .kernarg_segment_align: 8
    .kernarg_segment_size: 104
    .language:       OpenCL C
    .language_version:
      - 2
      - 0
    .max_flat_workgroup_size: 240
    .name:           bluestein_single_fwd_len360_dim1_sp_op_CI_CI
    .private_segment_fixed_size: 0
    .sgpr_count:     24
    .sgpr_spill_count: 0
    .symbol:         bluestein_single_fwd_len360_dim1_sp_op_CI_CI.kd
    .uniform_work_group_size: 1
    .uses_dynamic_stack: false
    .vgpr_count:     102
    .vgpr_spill_count: 0
    .wavefront_size: 64
amdhsa.target:   amdgcn-amd-amdhsa--gfx950
amdhsa.version:
  - 1
  - 2
...

	.end_amdgpu_metadata
